;; amdgpu-corpus repo=zjin-lcf/HeCBench kind=compiled arch=gfx90a opt=O3
	.text
	.amdgcn_target "amdgcn-amd-amdhsa--gfx90a"
	.amdhsa_code_object_version 6
	.protected	_Z22FP8TrtAddQKVBiasKernel21FP8TrtAddQKVBiasParamI19__hip_fp8_e4m3_fnuz14__hip_bfloat16E ; -- Begin function _Z22FP8TrtAddQKVBiasKernel21FP8TrtAddQKVBiasParamI19__hip_fp8_e4m3_fnuz14__hip_bfloat16E
	.globl	_Z22FP8TrtAddQKVBiasKernel21FP8TrtAddQKVBiasParamI19__hip_fp8_e4m3_fnuz14__hip_bfloat16E
	.p2align	8
	.type	_Z22FP8TrtAddQKVBiasKernel21FP8TrtAddQKVBiasParamI19__hip_fp8_e4m3_fnuz14__hip_bfloat16E,@function
_Z22FP8TrtAddQKVBiasKernel21FP8TrtAddQKVBiasParamI19__hip_fp8_e4m3_fnuz14__hip_bfloat16E: ; @_Z22FP8TrtAddQKVBiasKernel21FP8TrtAddQKVBiasParamI19__hip_fp8_e4m3_fnuz14__hip_bfloat16E
; %bb.0:
	s_load_dwordx2 s[0:1], s[4:5], 0x30
	s_load_dwordx8 s[8:15], s[4:5], 0x0
	v_bfe_u32 v1, v0, 20, 10
	v_bfe_u32 v7, v0, 10, 10
	v_and_b32_e32 v0, 0x3ff, v0
	s_waitcnt lgkmcnt(0)
	s_mul_i32 s2, s6, s1
	s_mul_i32 s17, s2, 3
	s_add_u32 s2, s10, s17
	s_addc_u32 s3, s11, 0
	s_ashr_i32 s6, s0, 31
	s_lshr_b32 s6, s6, 30
	s_add_i32 s0, s0, s6
	s_ashr_i32 s16, s0, 2
	s_ashr_i32 s0, s1, 31
	s_lshr_b32 s0, s0, 30
	s_add_i32 s0, s1, s0
	s_ashr_i32 s0, s0, 2
	v_mul_lo_u32 v2, s0, v1
	v_mul_lo_u32 v3, s16, v7
	v_add3_u32 v2, v3, v0, v2
	v_ashrrev_i32_e32 v3, 31, v2
	v_lshlrev_b64 v[4:5], 2, v[2:3]
	v_mov_b32_e32 v3, s3
	v_add_co_u32_e32 v4, vcc, s2, v4
	v_addc_co_u32_e32 v5, vcc, v3, v5, vcc
	global_load_dword v4, v[4:5], off
	s_movk_i32 s0, 0x7f
                                        ; implicit-def: $sgpr10
	s_waitcnt vmcnt(0)
	v_cmp_gt_i16_sdwa s[2:3], v4, s0 src0_sel:BYTE_0 src1_sel:DWORD
	s_mov_b64 s[0:1], 0
	s_and_saveexec_b64 s[6:7], s[2:3]
	s_xor_b64 s[2:3], exec, s[6:7]
	s_cbranch_execnz .LBB0_34
; %bb.1:
	s_or_saveexec_b64 s[2:3], s[2:3]
	v_mov_b32_e32 v5, s10
	s_xor_b64 exec, exec, s[2:3]
	s_cbranch_execnz .LBB0_37
.LBB0_2:
	s_or_b64 exec, exec, s[2:3]
	s_and_saveexec_b64 s[2:3], s[0:1]
	s_cbranch_execz .LBB0_4
.LBB0_3:
	v_and_b32_e32 v3, 7, v4
	v_ffbh_u32_e32 v6, v3
	v_min_u32_e32 v6, 32, v6
	v_bfe_u32 v5, v4, 3, 4
	v_subrev_u32_e32 v8, 28, v6
	v_lshlrev_b64 v[8:9], v8, v[4:5]
	v_sub_u32_e32 v6, 29, v6
	v_and_b32_e32 v8, 7, v8
	v_cmp_eq_u32_e32 vcc, 0, v5
	v_cndmask_b32_e32 v5, v5, v6, vcc
	v_cndmask_b32_e32 v3, v3, v8, vcc
	v_lshlrev_b32_e32 v6, 24, v4
	v_mov_b32_e32 v8, 0x3b800000
	v_lshlrev_b32_e32 v3, 20, v3
	v_and_b32_e32 v6, 0x80000000, v6
	v_lshl_add_u32 v5, v5, 23, v8
	v_or3_b32 v5, v6, v5, v3
.LBB0_4:
	s_or_b64 exec, exec, s[2:3]
	s_load_dwordx2 s[0:1], s[4:5], 0x20
	s_mov_b32 s2, 0x7f800000
	v_and_b32_e32 v3, 0x7f800000, v5
	v_cmp_ne_u32_e32 vcc, s2, v3
                                        ; implicit-def: $vgpr3
	s_and_saveexec_b64 s[2:3], vcc
	s_xor_b64 s[2:3], exec, s[2:3]
; %bb.5:
	v_bfe_u32 v3, v5, 16, 1
	s_movk_i32 s4, 0x7fff
	v_add3_u32 v3, v5, v3, s4
                                        ; implicit-def: $vgpr5
; %bb.6:
	s_andn2_saveexec_b64 s[2:3], s[2:3]
; %bb.7:
	v_mov_b32_e32 v3, 0
	v_or_b32_e32 v6, 0x10000, v5
	v_cmp_eq_u32_sdwa vcc, v5, v3 src0_sel:WORD_0 src1_sel:DWORD
	v_cndmask_b32_e32 v3, v6, v5, vcc
; %bb.8:
	s_or_b64 exec, exec, s[2:3]
	v_lshrrev_b32_e32 v6, 8, v4
	s_movk_i32 s2, 0x7f
	v_cmp_gt_i16_sdwa s[4:5], v6, s2 src0_sel:BYTE_0 src1_sel:DWORD
	s_mov_b64 s[2:3], 0
                                        ; implicit-def: $sgpr10
	s_and_saveexec_b64 s[6:7], s[4:5]
	s_xor_b64 s[4:5], exec, s[6:7]
	s_cbranch_execnz .LBB0_38
; %bb.9:
	s_or_saveexec_b64 s[4:5], s[4:5]
	v_mov_b32_e32 v5, s10
	s_xor_b64 exec, exec, s[4:5]
	s_cbranch_execnz .LBB0_41
.LBB0_10:
	s_or_b64 exec, exec, s[4:5]
	s_and_saveexec_b64 s[4:5], s[2:3]
	s_cbranch_execz .LBB0_12
.LBB0_11:
	v_bfe_u32 v5, v4, 8, 3
	v_ffbh_u32_e32 v8, v5
	v_min_u32_e32 v11, 32, v8
	v_subrev_u32_e32 v8, 28, v11
	v_bfe_u32 v10, v4, 11, 4
	v_lshlrev_b64 v[8:9], v8, v[6:7]
	v_sub_u32_e32 v9, 29, v11
	v_and_b32_e32 v8, 7, v8
	v_cmp_eq_u32_e32 vcc, 0, v10
	v_cndmask_b32_e32 v9, v10, v9, vcc
	v_cndmask_b32_e32 v5, v5, v8, vcc
	v_lshlrev_b32_e32 v6, 24, v6
	v_mov_b32_e32 v8, 0x3b800000
	v_lshlrev_b32_e32 v5, 20, v5
	v_and_b32_e32 v6, 0x80000000, v6
	v_lshl_add_u32 v8, v9, 23, v8
	v_or3_b32 v5, v6, v8, v5
.LBB0_12:
	s_or_b64 exec, exec, s[4:5]
	s_mov_b32 s2, 0x7f800000
	v_and_b32_e32 v6, 0x7f800000, v5
	v_cmp_ne_u32_e32 vcc, s2, v6
                                        ; implicit-def: $vgpr8
	s_and_saveexec_b64 s[2:3], vcc
	s_xor_b64 s[2:3], exec, s[2:3]
; %bb.13:
	v_bfe_u32 v6, v5, 16, 1
	s_movk_i32 s4, 0x7fff
	v_add3_u32 v8, v5, v6, s4
                                        ; implicit-def: $vgpr5
; %bb.14:
	s_andn2_saveexec_b64 s[2:3], s[2:3]
; %bb.15:
	v_mov_b32_e32 v6, 0
	v_or_b32_e32 v8, 0x10000, v5
	v_cmp_eq_u32_sdwa vcc, v5, v6 src0_sel:WORD_0 src1_sel:DWORD
	v_cndmask_b32_e32 v8, v8, v5, vcc
; %bb.16:
	s_or_b64 exec, exec, s[2:3]
	s_movk_i32 s2, 0xff
	v_and_b32_sdwa v5, v4, s2 dst_sel:DWORD dst_unused:UNUSED_PAD src0_sel:WORD_1 src1_sel:DWORD
	s_movk_i32 s2, 0x7f
	v_lshrrev_b32_e32 v6, 16, v4
	v_cmp_lt_i16_e32 vcc, s2, v5
	s_mov_b64 s[2:3], 0
                                        ; implicit-def: $sgpr10
	s_and_saveexec_b64 s[4:5], vcc
	s_xor_b64 s[4:5], exec, s[4:5]
	s_cbranch_execnz .LBB0_42
; %bb.17:
	s_or_saveexec_b64 s[4:5], s[4:5]
	v_mov_b32_e32 v9, s10
	s_xor_b64 exec, exec, s[4:5]
	s_cbranch_execnz .LBB0_45
.LBB0_18:
	s_or_b64 exec, exec, s[4:5]
	s_and_saveexec_b64 s[4:5], s[2:3]
	s_cbranch_execz .LBB0_20
.LBB0_19:
	v_bfe_u32 v5, v4, 16, 3
	v_ffbh_u32_e32 v10, v5
	v_min_u32_e32 v12, 32, v10
	v_bfe_u32 v9, v4, 19, 4
	v_subrev_u32_e32 v10, 28, v12
	v_lshlrev_b64 v[10:11], v10, v[6:7]
	v_sub_u32_e32 v6, 29, v12
	v_cmp_eq_u32_e32 vcc, 0, v9
	v_and_b32_e32 v10, 7, v10
	v_cndmask_b32_e32 v6, v9, v6, vcc
	v_mov_b32_e32 v9, 24
	v_cndmask_b32_e32 v5, v5, v10, vcc
	v_lshlrev_b32_sdwa v9, v9, v4 dst_sel:DWORD dst_unused:UNUSED_PAD src0_sel:DWORD src1_sel:WORD_1
	v_mov_b32_e32 v10, 0x3b800000
	v_lshlrev_b32_e32 v5, 20, v5
	v_and_b32_e32 v9, 0x80000000, v9
	v_lshl_add_u32 v6, v6, 23, v10
	v_or3_b32 v9, v9, v6, v5
.LBB0_20:
	s_or_b64 exec, exec, s[4:5]
	s_mov_b32 s2, 0x7f800000
	v_and_b32_e32 v5, 0x7f800000, v9
	v_cmp_ne_u32_e32 vcc, s2, v5
                                        ; implicit-def: $vgpr5
	s_and_saveexec_b64 s[2:3], vcc
	s_xor_b64 s[2:3], exec, s[2:3]
; %bb.21:
	v_bfe_u32 v5, v9, 16, 1
	s_movk_i32 s4, 0x7fff
	v_add3_u32 v5, v9, v5, s4
                                        ; implicit-def: $vgpr9
; %bb.22:
	s_andn2_saveexec_b64 s[2:3], s[2:3]
; %bb.23:
	v_mov_b32_e32 v5, 0
	v_or_b32_e32 v6, 0x10000, v9
	v_cmp_eq_u32_sdwa vcc, v9, v5 src0_sel:WORD_0 src1_sel:DWORD
	v_cndmask_b32_e32 v5, v6, v9, vcc
; %bb.24:
	s_or_b64 exec, exec, s[2:3]
	s_movk_i32 s2, 0x7f
	v_lshrrev_b32_e32 v6, 24, v4
	v_cmp_gt_i16_sdwa s[4:5], v4, s2 src0_sel:BYTE_3 src1_sel:DWORD
	s_mov_b64 s[2:3], 0
                                        ; implicit-def: $sgpr10
	s_and_saveexec_b64 s[6:7], s[4:5]
	s_xor_b64 s[4:5], exec, s[6:7]
	s_cbranch_execnz .LBB0_46
; %bb.25:
	s_or_saveexec_b64 s[4:5], s[4:5]
	v_mov_b32_e32 v9, s10
	s_xor_b64 exec, exec, s[4:5]
	s_cbranch_execnz .LBB0_49
.LBB0_26:
	s_or_b64 exec, exec, s[4:5]
	s_and_saveexec_b64 s[4:5], s[2:3]
	s_cbranch_execz .LBB0_28
.LBB0_27:
	v_bfe_u32 v9, v4, 24, 3
	v_ffbh_u32_e32 v10, v9
	v_min_u32_e32 v13, 32, v10
	v_subrev_u32_e32 v10, 28, v13
	v_bfe_u32 v12, v4, 27, 4
	v_lshlrev_b64 v[10:11], v10, v[6:7]
	v_and_b32_e32 v10, 7, v10
	v_cmp_eq_u32_e32 vcc, 0, v12
	v_sub_u32_e32 v6, 29, v13
	v_cndmask_b32_e32 v9, v9, v10, vcc
	v_mov_b32_e32 v10, 24
	v_cndmask_b32_e32 v6, v12, v6, vcc
	v_lshlrev_b32_sdwa v4, v10, v4 dst_sel:DWORD dst_unused:UNUSED_PAD src0_sel:DWORD src1_sel:BYTE_3
	v_mov_b32_e32 v10, 0x3b800000
	v_lshlrev_b32_e32 v9, 20, v9
	v_and_b32_e32 v4, 0x80000000, v4
	v_lshl_add_u32 v6, v6, 23, v10
	v_or3_b32 v9, v4, v6, v9
.LBB0_28:
	s_or_b64 exec, exec, s[4:5]
	s_mov_b32 s2, 0x7f800000
	v_and_b32_e32 v4, 0x7f800000, v9
	v_cmp_ne_u32_e32 vcc, s2, v4
                                        ; implicit-def: $vgpr4
	s_and_saveexec_b64 s[2:3], vcc
	s_xor_b64 s[2:3], exec, s[2:3]
; %bb.29:
	v_bfe_u32 v4, v9, 16, 1
	s_movk_i32 s4, 0x7fff
	v_add3_u32 v4, v9, v4, s4
                                        ; implicit-def: $vgpr9
; %bb.30:
	s_andn2_saveexec_b64 s[2:3], s[2:3]
; %bb.31:
	v_mov_b32_e32 v4, 0
	v_or_b32_e32 v6, 0x10000, v9
	v_cmp_eq_u32_sdwa vcc, v9, v4 src0_sel:WORD_0 src1_sel:DWORD
	v_cndmask_b32_e32 v4, v6, v9, vcc
; %bb.32:
	s_or_b64 exec, exec, s[2:3]
	s_load_dword s10, s[14:15], 0x0
	s_waitcnt lgkmcnt(0)
	s_and_b32 s4, s10, 0x7f800000
	s_cmp_lg_u32 s4, 0x7f800000
	s_cselect_b64 s[2:3], -1, 0
	s_cmp_eq_u32 s4, 0x7f800000
	s_cbranch_scc1 .LBB0_50
; %bb.33:
	s_bfe_u32 s4, s10, 0x10010
	s_add_i32 s4, s10, s4
	s_add_i32 s7, s4, 0x7fff
	s_cbranch_execz .LBB0_51
	s_branch .LBB0_52
.LBB0_34:
	s_movk_i32 s0, 0x80
	v_cmp_eq_u16_sdwa s[18:19], v4, s0 src0_sel:BYTE_0 src1_sel:DWORD
	s_mov_b64 s[0:1], -1
                                        ; implicit-def: $sgpr10
	s_and_saveexec_b64 s[6:7], s[18:19]
; %bb.35:
	s_mov_b32 s10, 0x7f800001
	s_xor_b64 s[0:1], exec, -1
; %bb.36:
	s_or_b64 exec, exec, s[6:7]
	s_and_b64 s[0:1], s[0:1], exec
	s_or_saveexec_b64 s[2:3], s[2:3]
	v_mov_b32_e32 v5, s10
	s_xor_b64 exec, exec, s[2:3]
	s_cbranch_execz .LBB0_2
.LBB0_37:
	s_mov_b32 s6, 0xffff
	v_mov_b32_e32 v3, 0
	v_and_b32_sdwa v5, s6, v4 dst_sel:DWORD dst_unused:UNUSED_PAD src0_sel:DWORD src1_sel:BYTE_0
	v_cmp_ne_u16_sdwa s[6:7], v4, v3 src0_sel:BYTE_0 src1_sel:DWORD
	s_andn2_b64 s[0:1], s[0:1], exec
	s_and_b64 s[6:7], s[6:7], exec
	s_or_b64 s[0:1], s[0:1], s[6:7]
	s_or_b64 exec, exec, s[2:3]
	s_and_saveexec_b64 s[2:3], s[0:1]
	s_cbranch_execnz .LBB0_3
	s_branch .LBB0_4
.LBB0_38:
	s_movk_i32 s2, 0x80
	v_cmp_eq_u16_sdwa s[18:19], v6, s2 src0_sel:BYTE_0 src1_sel:DWORD
	s_mov_b64 s[2:3], -1
                                        ; implicit-def: $sgpr10
	s_and_saveexec_b64 s[6:7], s[18:19]
; %bb.39:
	s_mov_b32 s10, 0x7f800001
	s_xor_b64 s[2:3], exec, -1
; %bb.40:
	s_or_b64 exec, exec, s[6:7]
	s_and_b64 s[2:3], s[2:3], exec
	s_or_saveexec_b64 s[4:5], s[4:5]
	v_mov_b32_e32 v5, s10
	s_xor_b64 exec, exec, s[4:5]
	s_cbranch_execz .LBB0_10
.LBB0_41:
	s_mov_b32 s6, 0xffff
	v_mov_b32_e32 v8, 0
	v_and_b32_sdwa v5, s6, v6 dst_sel:DWORD dst_unused:UNUSED_PAD src0_sel:DWORD src1_sel:BYTE_0
	v_cmp_ne_u16_sdwa s[6:7], v6, v8 src0_sel:BYTE_0 src1_sel:DWORD
	s_andn2_b64 s[2:3], s[2:3], exec
	s_and_b64 s[6:7], s[6:7], exec
	s_or_b64 s[2:3], s[2:3], s[6:7]
	s_or_b64 exec, exec, s[4:5]
	s_and_saveexec_b64 s[4:5], s[2:3]
	s_cbranch_execnz .LBB0_11
	s_branch .LBB0_12
.LBB0_42:
	s_movk_i32 s2, 0x80
	v_cmp_eq_u16_e32 vcc, s2, v5
	s_mov_b64 s[2:3], -1
                                        ; implicit-def: $sgpr10
	s_and_saveexec_b64 s[6:7], vcc
; %bb.43:
	s_mov_b32 s10, 0x7f800001
	s_xor_b64 s[2:3], exec, -1
; %bb.44:
	s_or_b64 exec, exec, s[6:7]
	s_and_b64 s[2:3], s[2:3], exec
                                        ; implicit-def: $vgpr5
	s_or_saveexec_b64 s[4:5], s[4:5]
	v_mov_b32_e32 v9, s10
	s_xor_b64 exec, exec, s[4:5]
	s_cbranch_execz .LBB0_18
.LBB0_45:
	v_cmp_ne_u16_e32 vcc, 0, v5
	s_andn2_b64 s[2:3], s[2:3], exec
	s_and_b64 s[6:7], vcc, exec
	v_and_b32_e32 v9, 0xffff, v5
	s_or_b64 s[2:3], s[2:3], s[6:7]
	s_or_b64 exec, exec, s[4:5]
	s_and_saveexec_b64 s[4:5], s[2:3]
	s_cbranch_execnz .LBB0_19
	s_branch .LBB0_20
.LBB0_46:
	s_movk_i32 s2, 0x80
	v_cmp_eq_u16_sdwa s[18:19], v4, s2 src0_sel:BYTE_3 src1_sel:DWORD
	s_mov_b64 s[2:3], -1
                                        ; implicit-def: $sgpr10
	s_and_saveexec_b64 s[6:7], s[18:19]
; %bb.47:
	s_mov_b32 s10, 0x7f800001
	s_xor_b64 s[2:3], exec, -1
; %bb.48:
	s_or_b64 exec, exec, s[6:7]
	s_and_b64 s[2:3], s[2:3], exec
	s_or_saveexec_b64 s[4:5], s[4:5]
	v_mov_b32_e32 v9, s10
	s_xor_b64 exec, exec, s[4:5]
	s_cbranch_execz .LBB0_26
.LBB0_49:
	s_mov_b32 s6, 0xffff
	v_mov_b32_e32 v10, 0
	v_and_b32_sdwa v9, s6, v4 dst_sel:DWORD dst_unused:UNUSED_PAD src0_sel:DWORD src1_sel:BYTE_3
	v_cmp_ne_u16_sdwa s[6:7], v4, v10 src0_sel:BYTE_3 src1_sel:DWORD
	s_andn2_b64 s[2:3], s[2:3], exec
	s_and_b64 s[6:7], s[6:7], exec
	s_or_b64 s[2:3], s[2:3], s[6:7]
	s_or_b64 exec, exec, s[4:5]
	s_and_saveexec_b64 s[4:5], s[2:3]
	s_cbranch_execnz .LBB0_27
	s_branch .LBB0_28
.LBB0_50:
                                        ; implicit-def: $sgpr7
.LBB0_51:
	s_and_b32 s4, s10, 0xffff
	s_or_b32 s5, s10, 0x10000
	s_cmp_eq_u32 s4, 0
	s_cselect_b32 s7, s10, s5
.LBB0_52:
	s_andn2_b64 vcc, exec, s[2:3]
	s_cbranch_vccnz .LBB0_54
; %bb.53:
	s_bfe_u32 s2, s10, 0x10010
	s_add_i32 s2, s10, s2
	s_add_i32 s6, s2, 0x7fff
	s_cbranch_execz .LBB0_55
	s_branch .LBB0_56
.LBB0_54:
                                        ; implicit-def: $sgpr6
.LBB0_55:
	s_and_b32 s2, s10, 0xffff
	s_or_b32 s3, s10, 0x10000
	s_cmp_eq_u32 s2, 0
	s_cselect_b32 s6, s10, s3
.LBB0_56:
	s_load_dword s10, s[0:1], 0x0
	s_waitcnt lgkmcnt(0)
	s_and_b32 s2, s10, 0x7f800000
	s_cmp_lg_u32 s2, 0x7f800000
	s_cselect_b64 s[0:1], -1, 0
	s_cmp_eq_u32 s2, 0x7f800000
	s_cbranch_scc1 .LBB0_58
; %bb.57:
	s_bfe_u32 s2, s10, 0x10010
	s_add_i32 s2, s10, s2
	s_add_i32 s4, s2, 0x7fff
	s_cbranch_execz .LBB0_59
	s_branch .LBB0_60
.LBB0_58:
                                        ; implicit-def: $sgpr4
.LBB0_59:
	s_and_b32 s2, s10, 0xffff
	s_or_b32 s3, s10, 0x10000
	s_cmp_eq_u32 s2, 0
	s_cselect_b32 s4, s10, s3
.LBB0_60:
	s_andn2_b64 vcc, exec, s[0:1]
	s_cbranch_vccnz .LBB0_62
; %bb.61:
	s_bfe_u32 s0, s10, 0x10010
	s_add_i32 s0, s10, s0
	s_add_i32 s5, s0, 0x7fff
	s_cbranch_execz .LBB0_63
	s_branch .LBB0_64
.LBB0_62:
                                        ; implicit-def: $sgpr5
.LBB0_63:
	s_and_b32 s0, s10, 0xffff
	s_or_b32 s1, s10, 0x10000
	s_cmp_eq_u32 s0, 0
	s_cselect_b32 s5, s10, s1
.LBB0_64:
	s_and_b32 s2, s7, 0xffff0000
	v_and_b32_e32 v3, 0xffff0000, v3
	v_mul_f32_e32 v3, s2, v3
	s_mov_b32 s0, 0x7f800000
	v_and_b32_e32 v6, 0x7f800000, v3
	v_cmp_ne_u32_e32 vcc, s0, v6
                                        ; implicit-def: $vgpr6
	s_and_saveexec_b64 s[0:1], vcc
	s_xor_b64 s[0:1], exec, s[0:1]
; %bb.65:
	v_bfe_u32 v6, v3, 16, 1
	s_movk_i32 s3, 0x7fff
	v_add3_u32 v6, v3, v6, s3
                                        ; implicit-def: $vgpr3
; %bb.66:
	s_andn2_saveexec_b64 s[0:1], s[0:1]
; %bb.67:
	v_mov_b32_e32 v6, 0
	v_or_b32_e32 v9, 0x10000, v3
	v_cmp_eq_u32_sdwa vcc, v3, v6 src0_sel:WORD_0 src1_sel:DWORD
	v_cndmask_b32_e32 v6, v9, v3, vcc
; %bb.68:
	s_or_b64 exec, exec, s[0:1]
	s_and_b32 s3, s6, 0xffff0000
	v_and_b32_e32 v3, 0xffff0000, v8
	v_mul_f32_e32 v3, s3, v3
	s_mov_b32 s0, 0x7f800000
	v_and_b32_e32 v8, 0x7f800000, v3
	v_cmp_ne_u32_e32 vcc, s0, v8
                                        ; implicit-def: $vgpr8
	s_and_saveexec_b64 s[0:1], vcc
	s_xor_b64 s[0:1], exec, s[0:1]
; %bb.69:
	v_bfe_u32 v8, v3, 16, 1
	s_movk_i32 s6, 0x7fff
	v_add3_u32 v8, v3, v8, s6
                                        ; implicit-def: $vgpr3
; %bb.70:
	s_andn2_saveexec_b64 s[0:1], s[0:1]
; %bb.71:
	v_mov_b32_e32 v8, 0
	v_or_b32_e32 v9, 0x10000, v3
	v_cmp_eq_u32_sdwa vcc, v3, v8 src0_sel:WORD_0 src1_sel:DWORD
	v_cndmask_b32_e32 v8, v9, v3, vcc
; %bb.72:
	s_or_b64 exec, exec, s[0:1]
	v_lshlrev_b32_e32 v2, 1, v2
	v_ashrrev_i32_e32 v3, 31, v2
	v_lshlrev_b64 v[2:3], 2, v[2:3]
	v_mov_b32_e32 v9, s13
	v_add_co_u32_e32 v2, vcc, s12, v2
	v_addc_co_u32_e32 v3, vcc, v9, v3, vcc
	global_load_dword v9, v[2:3], off
	v_and_b32_e32 v6, 0xffff0000, v6
	s_mov_b32 s0, 0x7f800000
	s_waitcnt vmcnt(0)
	v_lshlrev_b32_e32 v10, 16, v9
	v_add_f32_e32 v10, v6, v10
	v_and_b32_e32 v6, 0x7f800000, v10
	v_cmp_ne_u32_e32 vcc, s0, v6
                                        ; implicit-def: $vgpr6
	s_and_saveexec_b64 s[0:1], vcc
	s_xor_b64 s[0:1], exec, s[0:1]
; %bb.73:
	v_bfe_u32 v6, v10, 16, 1
	s_movk_i32 s6, 0x7fff
	v_add3_u32 v6, v10, v6, s6
                                        ; implicit-def: $vgpr10
; %bb.74:
	s_andn2_saveexec_b64 s[0:1], s[0:1]
; %bb.75:
	v_mov_b32_e32 v6, 0
	v_or_b32_e32 v11, 0x10000, v10
	v_cmp_eq_u32_sdwa vcc, v10, v6 src0_sel:WORD_0 src1_sel:DWORD
	v_cndmask_b32_e32 v6, v11, v10, vcc
; %bb.76:
	s_or_b64 exec, exec, s[0:1]
	v_and_b32_e32 v8, 0xffff0000, v8
	v_and_b32_e32 v9, 0xffff0000, v9
	v_add_f32_e32 v9, v8, v9
	s_mov_b32 s0, 0x7f800000
	v_and_b32_e32 v8, 0x7f800000, v9
	v_cmp_ne_u32_e32 vcc, s0, v8
                                        ; implicit-def: $vgpr8
	s_and_saveexec_b64 s[0:1], vcc
	s_xor_b64 s[0:1], exec, s[0:1]
; %bb.77:
	v_bfe_u32 v8, v9, 16, 1
	s_movk_i32 s6, 0x7fff
	v_add3_u32 v8, v9, v8, s6
                                        ; implicit-def: $vgpr9
; %bb.78:
	s_andn2_saveexec_b64 s[0:1], s[0:1]
; %bb.79:
	v_mov_b32_e32 v8, 0
	v_or_b32_e32 v10, 0x10000, v9
	v_cmp_eq_u32_sdwa vcc, v9, v8 src0_sel:WORD_0 src1_sel:DWORD
	v_cndmask_b32_e32 v8, v10, v9, vcc
; %bb.80:
	s_or_b64 exec, exec, s[0:1]
	s_and_b32 s4, s4, 0xffff0000
	v_and_b32_e32 v6, 0xffff0000, v6
	v_mul_f32_e32 v9, s4, v6
	s_mov_b32 s0, 0x7f800000
	v_and_b32_e32 v6, 0x7f800000, v9
	v_cmp_ne_u32_e32 vcc, s0, v6
                                        ; implicit-def: $vgpr6
	s_and_saveexec_b64 s[0:1], vcc
	s_xor_b64 s[0:1], exec, s[0:1]
; %bb.81:
	v_bfe_u32 v6, v9, 16, 1
	s_movk_i32 s6, 0x7fff
	v_add3_u32 v6, v9, v6, s6
                                        ; implicit-def: $vgpr9
; %bb.82:
	s_andn2_saveexec_b64 s[0:1], s[0:1]
; %bb.83:
	v_mov_b32_e32 v6, 0
	v_or_b32_e32 v10, 0x10000, v9
	v_cmp_eq_u32_sdwa vcc, v9, v6 src0_sel:WORD_0 src1_sel:DWORD
	v_cndmask_b32_e32 v6, v10, v9, vcc
; %bb.84:
	s_or_b64 exec, exec, s[0:1]
	v_and_b32_e32 v8, 0xffff0000, v8
	s_and_b32 s5, s5, 0xffff0000
	v_mul_f32_e32 v9, s5, v8
	s_mov_b32 s0, 0x7f800000
	v_and_b32_e32 v8, 0x7f800000, v9
	v_cmp_ne_u32_e32 vcc, s0, v8
                                        ; implicit-def: $vgpr8
	s_and_saveexec_b64 s[0:1], vcc
	s_xor_b64 s[0:1], exec, s[0:1]
; %bb.85:
	v_bfe_u32 v8, v9, 16, 1
	s_movk_i32 s6, 0x7fff
	v_add3_u32 v8, v9, v8, s6
                                        ; implicit-def: $vgpr9
; %bb.86:
	s_andn2_saveexec_b64 s[0:1], s[0:1]
; %bb.87:
	v_mov_b32_e32 v8, 0
	v_or_b32_e32 v10, 0x10000, v9
	v_cmp_eq_u32_sdwa vcc, v9, v8 src0_sel:WORD_0 src1_sel:DWORD
	v_cndmask_b32_e32 v8, v10, v9, vcc
; %bb.88:
	s_or_b64 exec, exec, s[0:1]
	v_and_b32_e32 v5, 0xffff0000, v5
	v_mul_f32_e32 v9, s2, v5
	s_mov_b32 s0, 0x7f800000
	v_and_b32_e32 v5, 0x7f800000, v9
	v_cmp_ne_u32_e32 vcc, s0, v5
                                        ; implicit-def: $vgpr5
	s_and_saveexec_b64 s[0:1], vcc
	s_xor_b64 s[0:1], exec, s[0:1]
; %bb.89:
	v_bfe_u32 v5, v9, 16, 1
	s_movk_i32 s2, 0x7fff
	v_add3_u32 v5, v9, v5, s2
                                        ; implicit-def: $vgpr9
; %bb.90:
	s_andn2_saveexec_b64 s[0:1], s[0:1]
; %bb.91:
	v_mov_b32_e32 v5, 0
	v_or_b32_e32 v10, 0x10000, v9
	v_cmp_eq_u32_sdwa vcc, v9, v5 src0_sel:WORD_0 src1_sel:DWORD
	v_cndmask_b32_e32 v5, v10, v9, vcc
; %bb.92:
	s_or_b64 exec, exec, s[0:1]
	v_and_b32_e32 v4, 0xffff0000, v4
	v_mul_f32_e32 v9, s3, v4
	s_mov_b32 s0, 0x7f800000
	v_and_b32_e32 v4, 0x7f800000, v9
	v_cmp_ne_u32_e32 vcc, s0, v4
                                        ; implicit-def: $vgpr4
	s_and_saveexec_b64 s[0:1], vcc
	s_xor_b64 s[0:1], exec, s[0:1]
; %bb.93:
	v_bfe_u32 v4, v9, 16, 1
	s_movk_i32 s2, 0x7fff
	v_add3_u32 v4, v9, v4, s2
                                        ; implicit-def: $vgpr9
; %bb.94:
	s_andn2_saveexec_b64 s[0:1], s[0:1]
; %bb.95:
	v_mov_b32_e32 v4, 0
	v_or_b32_e32 v10, 0x10000, v9
	v_cmp_eq_u32_sdwa vcc, v9, v4 src0_sel:WORD_0 src1_sel:DWORD
	v_cndmask_b32_e32 v4, v10, v9, vcc
; %bb.96:
	s_or_b64 exec, exec, s[0:1]
	global_load_dword v3, v[2:3], off offset:4
	v_and_b32_e32 v2, 0xffff0000, v5
	s_mov_b32 s0, 0x7f800000
	s_waitcnt vmcnt(0)
	v_lshlrev_b32_e32 v5, 16, v3
	v_add_f32_e32 v5, v2, v5
	v_and_b32_e32 v2, 0x7f800000, v5
	v_cmp_ne_u32_e32 vcc, s0, v2
                                        ; implicit-def: $vgpr2
	s_and_saveexec_b64 s[0:1], vcc
	s_xor_b64 s[0:1], exec, s[0:1]
; %bb.97:
	v_bfe_u32 v2, v5, 16, 1
	s_movk_i32 s2, 0x7fff
	v_add3_u32 v2, v5, v2, s2
                                        ; implicit-def: $vgpr5
; %bb.98:
	s_andn2_saveexec_b64 s[0:1], s[0:1]
; %bb.99:
	v_mov_b32_e32 v2, 0
	v_or_b32_e32 v9, 0x10000, v5
	v_cmp_eq_u32_sdwa vcc, v5, v2 src0_sel:WORD_0 src1_sel:DWORD
	v_cndmask_b32_e32 v2, v9, v5, vcc
; %bb.100:
	s_or_b64 exec, exec, s[0:1]
	v_and_b32_e32 v4, 0xffff0000, v4
	v_and_b32_e32 v3, 0xffff0000, v3
	v_add_f32_e32 v4, v4, v3
	s_mov_b32 s0, 0x7f800000
	v_and_b32_e32 v3, 0x7f800000, v4
	v_cmp_ne_u32_e32 vcc, s0, v3
                                        ; implicit-def: $vgpr3
	s_and_saveexec_b64 s[0:1], vcc
	s_xor_b64 s[0:1], exec, s[0:1]
; %bb.101:
	v_bfe_u32 v3, v4, 16, 1
	s_movk_i32 s2, 0x7fff
	v_add3_u32 v3, v4, v3, s2
                                        ; implicit-def: $vgpr4
; %bb.102:
	s_andn2_saveexec_b64 s[0:1], s[0:1]
; %bb.103:
	v_mov_b32_e32 v3, 0
	v_or_b32_e32 v5, 0x10000, v4
	v_cmp_eq_u32_sdwa vcc, v4, v3 src0_sel:WORD_0 src1_sel:DWORD
	v_cndmask_b32_e32 v3, v5, v4, vcc
; %bb.104:
	s_or_b64 exec, exec, s[0:1]
	v_and_b32_e32 v2, 0xffff0000, v2
	v_mul_f32_e32 v2, s4, v2
	s_mov_b32 s0, 0x7f800000
	v_and_b32_e32 v4, 0x7f800000, v2
	v_cmp_ne_u32_e32 vcc, s0, v4
                                        ; implicit-def: $vgpr11
	s_and_saveexec_b64 s[0:1], vcc
	s_xor_b64 s[0:1], exec, s[0:1]
; %bb.105:
	v_bfe_u32 v4, v2, 16, 1
	s_movk_i32 s2, 0x7fff
	v_add3_u32 v11, v2, v4, s2
                                        ; implicit-def: $vgpr2
; %bb.106:
	s_andn2_saveexec_b64 s[0:1], s[0:1]
; %bb.107:
	v_mov_b32_e32 v4, 0
	v_or_b32_e32 v5, 0x10000, v2
	v_cmp_eq_u32_sdwa vcc, v2, v4 src0_sel:WORD_0 src1_sel:DWORD
	v_cndmask_b32_e32 v11, v5, v2, vcc
; %bb.108:
	s_or_b64 exec, exec, s[0:1]
	v_and_b32_e32 v2, 0xffff0000, v3
	v_mul_f32_e32 v2, s5, v2
	s_mov_b32 s0, 0x7f800000
	v_and_b32_e32 v3, 0x7f800000, v2
	v_cmp_ne_u32_e32 vcc, s0, v3
                                        ; implicit-def: $vgpr10
	s_and_saveexec_b64 s[0:1], vcc
	s_xor_b64 s[0:1], exec, s[0:1]
; %bb.109:
	v_bfe_u32 v3, v2, 16, 1
	s_movk_i32 s2, 0x7fff
	v_add3_u32 v10, v2, v3, s2
                                        ; implicit-def: $vgpr2
; %bb.110:
	s_andn2_saveexec_b64 s[0:1], s[0:1]
; %bb.111:
	v_mov_b32_e32 v3, 0
	v_or_b32_e32 v4, 0x10000, v2
	v_cmp_eq_u32_sdwa vcc, v2, v3 src0_sel:WORD_0 src1_sel:DWORD
	v_cndmask_b32_e32 v10, v4, v2, vcc
; %bb.112:
	s_or_b64 exec, exec, s[0:1]
	v_and_b32_e32 v2, 0x7f800000, v10
	v_mov_b32_e32 v3, 0
	s_mov_b64 s[2:3], 0x7f800000
	v_cmp_ne_u64_e32 vcc, s[2:3], v[2:3]
	v_and_b32_e32 v2, 0x7fff0000, v10
	s_mov_b64 s[4:5], 0x43700001
	s_movk_i32 s12, 0x7f
	v_cmp_gt_u64_e64 s[0:1], s[4:5], v[2:3]
	v_mov_b32_e32 v4, 0
	v_or_b32_sdwa v9, v10, s12 dst_sel:DWORD dst_unused:UNUSED_PAD src0_sel:BYTE_3 src1_sel:DWORD
	s_and_b64 s[0:1], vcc, s[0:1]
	s_and_saveexec_b64 s[6:7], s[0:1]
	s_cbranch_execz .LBB0_120
; %bb.113:
	s_mov_b32 s0, 0xffff
	v_cmp_lt_u32_e32 vcc, s0, v10
	s_and_saveexec_b64 s[10:11], vcc
	s_cbranch_execz .LBB0_119
; %bb.114:
	v_bfe_u32 v4, v10, 23, 8
	s_movk_i32 s0, 0x79
	v_sub_u32_e32 v12, 0x78, v4
	v_cmp_gt_u32_e32 vcc, s0, v4
	v_and_b32_e32 v2, 0x7f0000, v10
	v_add_u32_e32 v9, 0xffffff81, v4
	v_cndmask_b32_e32 v12, 0, v12, vcc
	v_cmp_eq_u32_e32 vcc, 0, v4
	v_mov_b32_e32 v4, 0x77
	v_or_b32_e32 v13, 0x800000, v2
	v_cndmask_b32_e32 v18, v12, v4, vcc
	v_cndmask_b32_e32 v4, v13, v2, vcc
	v_add_u32_e32 v2, 20, v18
	v_lshlrev_b64 v[12:13], v2, -1
	v_mov_b32_e32 v5, 0
	v_mov_b32_e32 v14, 0xffffff82
	v_not_b32_e32 v2, v12
	v_cndmask_b32_e32 v9, v9, v14, vcc
	v_and_b32_e32 v14, v4, v2
	v_mov_b32_e32 v15, v5
	v_add_u32_e32 v2, 19, v18
	v_lshrrev_b64 v[4:5], v18, v[4:5]
	v_lshlrev_b64 v[16:17], v2, 1
	v_lshrrev_b32_e32 v2, 23, v4
	v_add3_u32 v12, v18, v9, v2
	v_bfe_u32 v2, v4, 20, 1
	v_add_u32_e32 v2, -1, v2
	v_cmp_eq_u64_e32 vcc, v[14:15], v[16:17]
	v_cndmask_b32_e32 v2, 0, v2, vcc
	v_add_u32_e32 v2, v2, v4
	v_and_b32_e32 v2, 0xfffff, v2
	v_add_co_u32_e32 v4, vcc, v2, v4
	v_add_u32_e32 v9, 7, v12
	v_addc_co_u32_e32 v5, vcc, 0, v5, vcc
	v_cmp_ne_u32_e32 vcc, 0, v9
                                        ; implicit-def: $vgpr2
	s_and_saveexec_b64 s[0:1], vcc
	s_xor_b64 s[0:1], exec, s[0:1]
; %bb.115:
	s_mov_b64 s[14:15], 0xffffff
	v_add_u32_e32 v2, 8, v12
	v_cmp_lt_u64_e32 vcc, s[14:15], v[4:5]
	v_cndmask_b32_e32 v2, v9, v2, vcc
	v_cndmask_b32_e64 v9, 0, 1, vcc
	v_lshrrev_b64 v[4:5], v9, v[4:5]
; %bb.116:
	s_andn2_saveexec_b64 s[0:1], s[0:1]
; %bb.117:
	v_bfe_u32 v2, v4, 23, 1
; %bb.118:
	s_or_b64 exec, exec, s[0:1]
	s_movk_i32 s0, 0x80
	v_lshrrev_b64 v[4:5], 20, v[4:5]
	v_cmp_gt_i32_e32 vcc, 16, v2
	v_and_b32_sdwa v9, v10, s0 dst_sel:DWORD dst_unused:UNUSED_PAD src0_sel:BYTE_3 src1_sel:DWORD
	v_min_i32_e32 v10, 15, v2
	v_cndmask_b32_e32 v5, 0, v5, vcc
	v_cndmask_b32_e32 v4, 7, v4, vcc
	v_cmp_eq_u32_e32 vcc, 0, v2
	v_cmp_eq_u64_e64 s[0:1], 0, v[4:5]
	v_lshlrev_b32_e32 v2, 3, v10
	v_and_b32_e32 v4, 7, v4
	v_or3_b32 v2, v2, v9, v4
	s_and_b64 s[0:1], vcc, s[0:1]
	v_cndmask_b32_e64 v4, v2, 0, s[0:1]
.LBB0_119:
	s_or_b64 exec, exec, s[10:11]
	v_mov_b32_e32 v9, v4
.LBB0_120:
	s_or_b64 exec, exec, s[6:7]
	v_and_b32_e32 v2, 0x7f800000, v11
	v_cmp_ne_u64_e32 vcc, s[2:3], v[2:3]
	v_and_b32_e32 v2, 0x7fff0000, v11
	v_cmp_gt_u64_e64 s[0:1], s[4:5], v[2:3]
	v_or_b32_sdwa v10, v11, s12 dst_sel:DWORD dst_unused:UNUSED_PAD src0_sel:BYTE_3 src1_sel:DWORD
	s_and_b64 s[0:1], vcc, s[0:1]
	s_and_saveexec_b64 s[2:3], s[0:1]
	s_cbranch_execz .LBB0_128
; %bb.121:
	s_mov_b32 s0, 0xffff
	v_cmp_lt_u32_e32 vcc, s0, v11
	v_mov_b32_e32 v10, 0
	s_and_saveexec_b64 s[4:5], vcc
	s_cbranch_execz .LBB0_127
; %bb.122:
	v_bfe_u32 v4, v11, 23, 8
	s_movk_i32 s0, 0x79
	v_sub_u32_e32 v10, 0x78, v4
	v_cmp_gt_u32_e32 vcc, s0, v4
	v_add_u32_e32 v5, 0xffffff81, v4
	v_cndmask_b32_e32 v10, 0, v10, vcc
	v_cmp_eq_u32_e32 vcc, 0, v4
	v_mov_b32_e32 v4, 0x77
	v_cndmask_b32_e32 v10, v10, v4, vcc
	v_and_b32_e32 v2, 0x7f0000, v11
	v_mov_b32_e32 v13, 0xffffff82
	v_add_u32_e32 v4, 20, v10
	v_or_b32_e32 v12, 0x800000, v2
	v_cndmask_b32_e32 v16, v5, v13, vcc
	v_lshlrev_b64 v[4:5], v4, -1
	v_mov_b32_e32 v3, 0
	v_cndmask_b32_e32 v2, v12, v2, vcc
	v_not_b32_e32 v4, v4
	v_and_b32_e32 v12, v2, v4
	v_mov_b32_e32 v13, v3
	v_add_u32_e32 v4, 19, v10
	v_lshrrev_b64 v[2:3], v10, v[2:3]
	v_lshlrev_b64 v[14:15], v4, 1
	v_lshrrev_b32_e32 v4, 23, v2
	v_add3_u32 v10, v10, v16, v4
	v_bfe_u32 v4, v2, 20, 1
	v_add_u32_e32 v4, -1, v4
	v_cmp_eq_u64_e32 vcc, v[12:13], v[14:15]
	v_cndmask_b32_e32 v4, 0, v4, vcc
	v_add_u32_e32 v4, v4, v2
	v_and_b32_e32 v4, 0xfffff, v4
	v_add_co_u32_e32 v2, vcc, v4, v2
	v_add_u32_e32 v5, 7, v10
	v_addc_co_u32_e32 v3, vcc, 0, v3, vcc
	v_cmp_ne_u32_e32 vcc, 0, v5
                                        ; implicit-def: $vgpr4
	s_and_saveexec_b64 s[0:1], vcc
	s_xor_b64 s[0:1], exec, s[0:1]
; %bb.123:
	s_mov_b64 s[6:7], 0xffffff
	v_add_u32_e32 v4, 8, v10
	v_cmp_lt_u64_e32 vcc, s[6:7], v[2:3]
	v_cndmask_b32_e32 v4, v5, v4, vcc
	v_cndmask_b32_e64 v5, 0, 1, vcc
	v_lshrrev_b64 v[2:3], v5, v[2:3]
; %bb.124:
	s_andn2_saveexec_b64 s[0:1], s[0:1]
; %bb.125:
	v_bfe_u32 v4, v2, 23, 1
; %bb.126:
	s_or_b64 exec, exec, s[0:1]
	v_lshrrev_b64 v[2:3], 20, v[2:3]
	v_cmp_gt_i32_e32 vcc, 16, v4
	s_movk_i32 s0, 0x80
	v_min_i32_e32 v10, 15, v4
	v_cndmask_b32_e32 v3, 0, v3, vcc
	v_cndmask_b32_e32 v2, 7, v2, vcc
	v_and_b32_sdwa v5, v11, s0 dst_sel:DWORD dst_unused:UNUSED_PAD src0_sel:BYTE_3 src1_sel:DWORD
	v_cmp_eq_u64_e64 s[0:1], 0, v[2:3]
	v_lshlrev_b32_e32 v3, 3, v10
	v_cmp_eq_u32_e32 vcc, 0, v4
	v_and_b32_e32 v2, 7, v2
	v_and_b32_e32 v3, 0xf8, v3
	v_or3_b32 v2, v3, v5, v2
	s_and_b64 s[0:1], vcc, s[0:1]
	v_cndmask_b32_e64 v10, v2, 0, s[0:1]
.LBB0_127:
	s_or_b64 exec, exec, s[4:5]
.LBB0_128:
	s_or_b64 exec, exec, s[2:3]
	v_and_b32_e32 v2, 0x7f800000, v8
	v_mov_b32_e32 v3, 0
	s_mov_b64 s[2:3], 0x7f800000
	v_cmp_ne_u64_e32 vcc, s[2:3], v[2:3]
	v_and_b32_e32 v2, 0x7fff0000, v8
	s_mov_b64 s[4:5], 0x43700001
	v_cmp_gt_u64_e64 s[0:1], s[4:5], v[2:3]
	v_mov_b32_e32 v5, 0
	v_or_b32_sdwa v4, v8, s12 dst_sel:DWORD dst_unused:UNUSED_PAD src0_sel:BYTE_3 src1_sel:DWORD
	s_and_b64 s[0:1], vcc, s[0:1]
	s_and_saveexec_b64 s[6:7], s[0:1]
	s_cbranch_execz .LBB0_136
; %bb.129:
	s_mov_b32 s0, 0xffff
	v_cmp_lt_u32_e32 vcc, s0, v8
	s_and_saveexec_b64 s[10:11], vcc
	s_cbranch_execz .LBB0_135
; %bb.130:
	v_bfe_u32 v4, v8, 23, 8
	s_movk_i32 s0, 0x79
	v_sub_u32_e32 v12, 0x78, v4
	v_cmp_gt_u32_e32 vcc, s0, v4
	v_and_b32_e32 v2, 0x7f0000, v8
	v_add_u32_e32 v11, 0xffffff81, v4
	v_cndmask_b32_e32 v12, 0, v12, vcc
	v_cmp_eq_u32_e32 vcc, 0, v4
	v_mov_b32_e32 v4, 0x77
	v_or_b32_e32 v13, 0x800000, v2
	v_cndmask_b32_e32 v18, v12, v4, vcc
	v_cndmask_b32_e32 v4, v13, v2, vcc
	v_add_u32_e32 v2, 20, v18
	v_lshlrev_b64 v[12:13], v2, -1
	v_mov_b32_e32 v5, 0
	v_mov_b32_e32 v14, 0xffffff82
	v_not_b32_e32 v2, v12
	v_cndmask_b32_e32 v11, v11, v14, vcc
	v_and_b32_e32 v14, v4, v2
	v_mov_b32_e32 v15, v5
	v_add_u32_e32 v2, 19, v18
	v_lshrrev_b64 v[4:5], v18, v[4:5]
	v_lshlrev_b64 v[16:17], v2, 1
	v_lshrrev_b32_e32 v2, 23, v4
	v_add3_u32 v12, v18, v11, v2
	v_bfe_u32 v2, v4, 20, 1
	v_add_u32_e32 v2, -1, v2
	v_cmp_eq_u64_e32 vcc, v[14:15], v[16:17]
	v_cndmask_b32_e32 v2, 0, v2, vcc
	v_add_u32_e32 v2, v2, v4
	v_and_b32_e32 v2, 0xfffff, v2
	v_add_co_u32_e32 v4, vcc, v2, v4
	v_add_u32_e32 v11, 7, v12
	v_addc_co_u32_e32 v5, vcc, 0, v5, vcc
	v_cmp_ne_u32_e32 vcc, 0, v11
                                        ; implicit-def: $vgpr2
	s_and_saveexec_b64 s[0:1], vcc
	s_xor_b64 s[0:1], exec, s[0:1]
; %bb.131:
	s_mov_b64 s[14:15], 0xffffff
	v_add_u32_e32 v2, 8, v12
	v_cmp_lt_u64_e32 vcc, s[14:15], v[4:5]
	v_cndmask_b32_e32 v2, v11, v2, vcc
	v_cndmask_b32_e64 v11, 0, 1, vcc
	v_lshrrev_b64 v[4:5], v11, v[4:5]
; %bb.132:
	s_andn2_saveexec_b64 s[0:1], s[0:1]
; %bb.133:
	v_bfe_u32 v2, v4, 23, 1
; %bb.134:
	s_or_b64 exec, exec, s[0:1]
	v_lshrrev_b64 v[4:5], 20, v[4:5]
	v_cmp_gt_i32_e32 vcc, 16, v2
	s_movk_i32 s0, 0x80
	v_min_i32_e32 v11, 15, v2
	v_cndmask_b32_e32 v5, 0, v5, vcc
	v_cndmask_b32_e32 v4, 7, v4, vcc
	v_and_b32_sdwa v8, v8, s0 dst_sel:DWORD dst_unused:UNUSED_PAD src0_sel:BYTE_3 src1_sel:DWORD
	v_cmp_eq_u32_e32 vcc, 0, v2
	v_cmp_eq_u64_e64 s[0:1], 0, v[4:5]
	v_lshlrev_b32_e32 v2, 3, v11
	v_and_b32_e32 v4, 7, v4
	v_or3_b32 v2, v2, v8, v4
	s_and_b64 s[0:1], vcc, s[0:1]
	v_cndmask_b32_e64 v5, v2, 0, s[0:1]
.LBB0_135:
	s_or_b64 exec, exec, s[10:11]
	v_mov_b32_e32 v4, v5
.LBB0_136:
	s_or_b64 exec, exec, s[6:7]
	v_and_b32_e32 v2, 0x7f800000, v6
	v_cmp_ne_u64_e32 vcc, s[2:3], v[2:3]
	v_and_b32_e32 v2, 0x7fff0000, v6
	v_cmp_gt_u64_e64 s[0:1], s[4:5], v[2:3]
	v_or_b32_sdwa v5, v6, s12 dst_sel:DWORD dst_unused:UNUSED_PAD src0_sel:BYTE_3 src1_sel:DWORD
	s_and_b64 s[0:1], vcc, s[0:1]
	s_and_saveexec_b64 s[2:3], s[0:1]
	s_cbranch_execz .LBB0_144
; %bb.137:
	s_mov_b32 s0, 0xffff
	v_cmp_lt_u32_e32 vcc, s0, v6
	v_mov_b32_e32 v5, 0
	s_and_saveexec_b64 s[4:5], vcc
	s_cbranch_execz .LBB0_143
; %bb.138:
	v_bfe_u32 v5, v6, 23, 8
	s_movk_i32 s0, 0x79
	v_sub_u32_e32 v11, 0x78, v5
	v_cmp_gt_u32_e32 vcc, s0, v5
	v_add_u32_e32 v8, 0xffffff81, v5
	v_cndmask_b32_e32 v11, 0, v11, vcc
	v_mov_b32_e32 v13, 0xffffff82
	v_cmp_eq_u32_e32 vcc, 0, v5
	v_cndmask_b32_e32 v5, v8, v13, vcc
	v_mov_b32_e32 v8, 0x77
	v_and_b32_e32 v2, 0x7f0000, v6
	v_cndmask_b32_e32 v8, v11, v8, vcc
	v_or_b32_e32 v12, 0x800000, v2
	v_add_u32_e32 v11, 20, v8
	v_cndmask_b32_e32 v2, v12, v2, vcc
	v_lshlrev_b64 v[12:13], v11, -1
	v_mov_b32_e32 v3, 0
	v_not_b32_e32 v11, v12
	v_and_b32_e32 v12, v2, v11
	v_mov_b32_e32 v13, v3
	v_add_u32_e32 v11, 19, v8
	v_lshrrev_b64 v[2:3], v8, v[2:3]
	v_lshlrev_b64 v[14:15], v11, 1
	v_lshrrev_b32_e32 v11, 23, v2
	v_add3_u32 v11, v8, v5, v11
	v_bfe_u32 v5, v2, 20, 1
	v_add_u32_e32 v5, -1, v5
	v_cmp_eq_u64_e32 vcc, v[12:13], v[14:15]
	v_cndmask_b32_e32 v5, 0, v5, vcc
	v_add_u32_e32 v5, v5, v2
	v_and_b32_e32 v5, 0xfffff, v5
	v_add_co_u32_e32 v2, vcc, v5, v2
	v_add_u32_e32 v8, 7, v11
	v_addc_co_u32_e32 v3, vcc, 0, v3, vcc
	v_cmp_ne_u32_e32 vcc, 0, v8
                                        ; implicit-def: $vgpr5
	s_and_saveexec_b64 s[0:1], vcc
	s_xor_b64 s[0:1], exec, s[0:1]
; %bb.139:
	s_mov_b64 s[6:7], 0xffffff
	v_add_u32_e32 v5, 8, v11
	v_cmp_lt_u64_e32 vcc, s[6:7], v[2:3]
	v_cndmask_b32_e32 v5, v8, v5, vcc
	v_cndmask_b32_e64 v8, 0, 1, vcc
	v_lshrrev_b64 v[2:3], v8, v[2:3]
; %bb.140:
	s_andn2_saveexec_b64 s[0:1], s[0:1]
; %bb.141:
	v_bfe_u32 v5, v2, 23, 1
; %bb.142:
	s_or_b64 exec, exec, s[0:1]
	v_lshrrev_b64 v[2:3], 20, v[2:3]
	v_cmp_gt_i32_e32 vcc, 16, v5
	s_movk_i32 s0, 0x80
	v_min_i32_e32 v8, 15, v5
	v_cndmask_b32_e32 v3, 0, v3, vcc
	v_cndmask_b32_e32 v2, 7, v2, vcc
	v_and_b32_sdwa v6, v6, s0 dst_sel:DWORD dst_unused:UNUSED_PAD src0_sel:BYTE_3 src1_sel:DWORD
	v_cmp_eq_u64_e64 s[0:1], 0, v[2:3]
	v_lshlrev_b32_e32 v3, 3, v8
	v_cmp_eq_u32_e32 vcc, 0, v5
	v_and_b32_e32 v2, 7, v2
	v_and_b32_e32 v3, 0xf8, v3
	v_or3_b32 v2, v3, v6, v2
	s_and_b64 s[0:1], vcc, s[0:1]
	v_cndmask_b32_e64 v5, v2, 0, s[0:1]
.LBB0_143:
	s_or_b64 exec, exec, s[4:5]
.LBB0_144:
	s_or_b64 exec, exec, s[2:3]
	v_lshlrev_b32_e32 v2, 8, v9
	s_mov_b32 s0, 0xff00
	v_mad_u32_u24 v1, v7, 3, v1
	v_and_or_b32 v2, v2, s0, v10
	v_mad_u64_u32 v[0:1], s[0:1], s16, v1, v[0:1]
	s_add_u32 s2, s8, s17
	v_mov_b32_e32 v1, 0
	s_addc_u32 s3, s9, 0
	v_lshlrev_b32_e32 v3, 16, v5
	v_lshlrev_b32_e32 v4, 24, v4
	v_lshlrev_b64 v[0:1], 2, v[0:1]
	v_or3_b32 v2, v4, v3, v2
	v_mov_b32_e32 v3, s3
	v_add_co_u32_e32 v0, vcc, s2, v0
	v_addc_co_u32_e32 v1, vcc, v3, v1, vcc
	global_store_dword v[0:1], v2, off
	s_endpgm
	.section	.rodata,"a",@progbits
	.p2align	6, 0x0
	.amdhsa_kernel _Z22FP8TrtAddQKVBiasKernel21FP8TrtAddQKVBiasParamI19__hip_fp8_e4m3_fnuz14__hip_bfloat16E
		.amdhsa_group_segment_fixed_size 0
		.amdhsa_private_segment_fixed_size 0
		.amdhsa_kernarg_size 56
		.amdhsa_user_sgpr_count 6
		.amdhsa_user_sgpr_private_segment_buffer 1
		.amdhsa_user_sgpr_dispatch_ptr 0
		.amdhsa_user_sgpr_queue_ptr 0
		.amdhsa_user_sgpr_kernarg_segment_ptr 1
		.amdhsa_user_sgpr_dispatch_id 0
		.amdhsa_user_sgpr_flat_scratch_init 0
		.amdhsa_user_sgpr_kernarg_preload_length 0
		.amdhsa_user_sgpr_kernarg_preload_offset 0
		.amdhsa_user_sgpr_private_segment_size 0
		.amdhsa_uses_dynamic_stack 0
		.amdhsa_system_sgpr_private_segment_wavefront_offset 0
		.amdhsa_system_sgpr_workgroup_id_x 1
		.amdhsa_system_sgpr_workgroup_id_y 0
		.amdhsa_system_sgpr_workgroup_id_z 0
		.amdhsa_system_sgpr_workgroup_info 0
		.amdhsa_system_vgpr_workitem_id 2
		.amdhsa_next_free_vgpr 19
		.amdhsa_next_free_sgpr 20
		.amdhsa_accum_offset 20
		.amdhsa_reserve_vcc 1
		.amdhsa_reserve_flat_scratch 0
		.amdhsa_float_round_mode_32 0
		.amdhsa_float_round_mode_16_64 0
		.amdhsa_float_denorm_mode_32 3
		.amdhsa_float_denorm_mode_16_64 3
		.amdhsa_dx10_clamp 1
		.amdhsa_ieee_mode 1
		.amdhsa_fp16_overflow 0
		.amdhsa_tg_split 0
		.amdhsa_exception_fp_ieee_invalid_op 0
		.amdhsa_exception_fp_denorm_src 0
		.amdhsa_exception_fp_ieee_div_zero 0
		.amdhsa_exception_fp_ieee_overflow 0
		.amdhsa_exception_fp_ieee_underflow 0
		.amdhsa_exception_fp_ieee_inexact 0
		.amdhsa_exception_int_div_zero 0
	.end_amdhsa_kernel
	.text
.Lfunc_end0:
	.size	_Z22FP8TrtAddQKVBiasKernel21FP8TrtAddQKVBiasParamI19__hip_fp8_e4m3_fnuz14__hip_bfloat16E, .Lfunc_end0-_Z22FP8TrtAddQKVBiasKernel21FP8TrtAddQKVBiasParamI19__hip_fp8_e4m3_fnuz14__hip_bfloat16E
                                        ; -- End function
	.section	.AMDGPU.csdata,"",@progbits
; Kernel info:
; codeLenInByte = 4884
; NumSgprs: 24
; NumVgprs: 19
; NumAgprs: 0
; TotalNumVgprs: 19
; ScratchSize: 0
; MemoryBound: 0
; FloatMode: 240
; IeeeMode: 1
; LDSByteSize: 0 bytes/workgroup (compile time only)
; SGPRBlocks: 2
; VGPRBlocks: 2
; NumSGPRsForWavesPerEU: 24
; NumVGPRsForWavesPerEU: 19
; AccumOffset: 20
; Occupancy: 8
; WaveLimiterHint : 0
; COMPUTE_PGM_RSRC2:SCRATCH_EN: 0
; COMPUTE_PGM_RSRC2:USER_SGPR: 6
; COMPUTE_PGM_RSRC2:TRAP_HANDLER: 0
; COMPUTE_PGM_RSRC2:TGID_X_EN: 1
; COMPUTE_PGM_RSRC2:TGID_Y_EN: 0
; COMPUTE_PGM_RSRC2:TGID_Z_EN: 0
; COMPUTE_PGM_RSRC2:TIDIG_COMP_CNT: 2
; COMPUTE_PGM_RSRC3_GFX90A:ACCUM_OFFSET: 4
; COMPUTE_PGM_RSRC3_GFX90A:TG_SPLIT: 0
	.text
	.p2alignl 6, 3212836864
	.fill 256, 4, 3212836864
	.type	__hip_cuid_4a7da8ed109891fa,@object ; @__hip_cuid_4a7da8ed109891fa
	.section	.bss,"aw",@nobits
	.globl	__hip_cuid_4a7da8ed109891fa
__hip_cuid_4a7da8ed109891fa:
	.byte	0                               ; 0x0
	.size	__hip_cuid_4a7da8ed109891fa, 1

	.ident	"AMD clang version 19.0.0git (https://github.com/RadeonOpenCompute/llvm-project roc-6.4.0 25133 c7fe45cf4b819c5991fe208aaa96edf142730f1d)"
	.section	".note.GNU-stack","",@progbits
	.addrsig
	.addrsig_sym __hip_cuid_4a7da8ed109891fa
	.amdgpu_metadata
---
amdhsa.kernels:
  - .agpr_count:     0
    .args:
      - .offset:         0
        .size:           56
        .value_kind:     by_value
    .group_segment_fixed_size: 0
    .kernarg_segment_align: 8
    .kernarg_segment_size: 56
    .language:       OpenCL C
    .language_version:
      - 2
      - 0
    .max_flat_workgroup_size: 1024
    .name:           _Z22FP8TrtAddQKVBiasKernel21FP8TrtAddQKVBiasParamI19__hip_fp8_e4m3_fnuz14__hip_bfloat16E
    .private_segment_fixed_size: 0
    .sgpr_count:     24
    .sgpr_spill_count: 0
    .symbol:         _Z22FP8TrtAddQKVBiasKernel21FP8TrtAddQKVBiasParamI19__hip_fp8_e4m3_fnuz14__hip_bfloat16E.kd
    .uniform_work_group_size: 1
    .uses_dynamic_stack: false
    .vgpr_count:     19
    .vgpr_spill_count: 0
    .wavefront_size: 64
amdhsa.target:   amdgcn-amd-amdhsa--gfx90a
amdhsa.version:
  - 1
  - 2
...

	.end_amdgpu_metadata
